;; amdgpu-corpus repo=ROCm/rocFFT kind=compiled arch=gfx906 opt=O3
	.text
	.amdgcn_target "amdgcn-amd-amdhsa--gfx906"
	.amdhsa_code_object_version 6
	.protected	fft_rtc_fwd_len374_factors_17_2_11_wgs_238_tpt_34_halfLds_sp_op_CI_CI_unitstride_sbrr_C2R_dirReg ; -- Begin function fft_rtc_fwd_len374_factors_17_2_11_wgs_238_tpt_34_halfLds_sp_op_CI_CI_unitstride_sbrr_C2R_dirReg
	.globl	fft_rtc_fwd_len374_factors_17_2_11_wgs_238_tpt_34_halfLds_sp_op_CI_CI_unitstride_sbrr_C2R_dirReg
	.p2align	8
	.type	fft_rtc_fwd_len374_factors_17_2_11_wgs_238_tpt_34_halfLds_sp_op_CI_CI_unitstride_sbrr_C2R_dirReg,@function
fft_rtc_fwd_len374_factors_17_2_11_wgs_238_tpt_34_halfLds_sp_op_CI_CI_unitstride_sbrr_C2R_dirReg: ; @fft_rtc_fwd_len374_factors_17_2_11_wgs_238_tpt_34_halfLds_sp_op_CI_CI_unitstride_sbrr_C2R_dirReg
; %bb.0:
	s_load_dwordx4 s[8:11], s[4:5], 0x58
	s_load_dwordx4 s[12:15], s[4:5], 0x0
	;; [unrolled: 1-line block ×3, first 2 shown]
	v_mul_u32_u24_e32 v1, 0x788, v0
	v_lshrrev_b32_e32 v1, 16, v1
	v_mad_u64_u32 v[3:4], s[0:1], s6, 7, v[1:2]
	v_mov_b32_e32 v5, 0
	v_mov_b32_e32 v1, 0
	;; [unrolled: 1-line block ×3, first 2 shown]
	s_waitcnt lgkmcnt(0)
	v_cmp_lt_u64_e64 s[0:1], s[14:15], 2
	v_mov_b32_e32 v2, 0
	v_mov_b32_e32 v37, v2
	;; [unrolled: 1-line block ×3, first 2 shown]
	s_and_b64 vcc, exec, s[0:1]
	v_mov_b32_e32 v36, v1
	v_mov_b32_e32 v38, v3
	s_cbranch_vccnz .LBB0_8
; %bb.1:
	s_load_dwordx2 s[0:1], s[4:5], 0x10
	s_add_u32 s2, s18, 8
	s_addc_u32 s3, s19, 0
	s_add_u32 s6, s16, 8
	v_mov_b32_e32 v1, 0
	s_addc_u32 s7, s17, 0
	v_mov_b32_e32 v2, 0
	s_waitcnt lgkmcnt(0)
	s_add_u32 s20, s0, 8
	v_mov_b32_e32 v37, v2
	v_mov_b32_e32 v8, v4
	s_addc_u32 s21, s1, 0
	s_mov_b64 s[22:23], 1
	v_mov_b32_e32 v36, v1
	v_mov_b32_e32 v7, v3
.LBB0_2:                                ; =>This Inner Loop Header: Depth=1
	s_load_dwordx2 s[24:25], s[20:21], 0x0
                                        ; implicit-def: $vgpr38_vgpr39
	s_waitcnt lgkmcnt(0)
	v_or_b32_e32 v6, s25, v8
	v_cmp_ne_u64_e32 vcc, 0, v[5:6]
	s_and_saveexec_b64 s[0:1], vcc
	s_xor_b64 s[26:27], exec, s[0:1]
	s_cbranch_execz .LBB0_4
; %bb.3:                                ;   in Loop: Header=BB0_2 Depth=1
	v_cvt_f32_u32_e32 v4, s24
	v_cvt_f32_u32_e32 v6, s25
	s_sub_u32 s0, 0, s24
	s_subb_u32 s1, 0, s25
	v_mac_f32_e32 v4, 0x4f800000, v6
	v_rcp_f32_e32 v4, v4
	v_mul_f32_e32 v4, 0x5f7ffffc, v4
	v_mul_f32_e32 v6, 0x2f800000, v4
	v_trunc_f32_e32 v6, v6
	v_mac_f32_e32 v4, 0xcf800000, v6
	v_cvt_u32_f32_e32 v6, v6
	v_cvt_u32_f32_e32 v4, v4
	v_mul_lo_u32 v9, s0, v6
	v_mul_hi_u32 v10, s0, v4
	v_mul_lo_u32 v12, s1, v4
	v_mul_lo_u32 v11, s0, v4
	v_add_u32_e32 v9, v10, v9
	v_add_u32_e32 v9, v9, v12
	v_mul_hi_u32 v10, v4, v11
	v_mul_lo_u32 v12, v4, v9
	v_mul_hi_u32 v14, v4, v9
	v_mul_hi_u32 v13, v6, v11
	v_mul_lo_u32 v11, v6, v11
	v_mul_hi_u32 v15, v6, v9
	v_add_co_u32_e32 v10, vcc, v10, v12
	v_addc_co_u32_e32 v12, vcc, 0, v14, vcc
	v_mul_lo_u32 v9, v6, v9
	v_add_co_u32_e32 v10, vcc, v10, v11
	v_addc_co_u32_e32 v10, vcc, v12, v13, vcc
	v_addc_co_u32_e32 v11, vcc, 0, v15, vcc
	v_add_co_u32_e32 v9, vcc, v10, v9
	v_addc_co_u32_e32 v10, vcc, 0, v11, vcc
	v_add_co_u32_e32 v4, vcc, v4, v9
	v_addc_co_u32_e32 v6, vcc, v6, v10, vcc
	v_mul_lo_u32 v9, s0, v6
	v_mul_hi_u32 v10, s0, v4
	v_mul_lo_u32 v11, s1, v4
	v_mul_lo_u32 v12, s0, v4
	v_add_u32_e32 v9, v10, v9
	v_add_u32_e32 v9, v9, v11
	v_mul_lo_u32 v13, v4, v9
	v_mul_hi_u32 v14, v4, v12
	v_mul_hi_u32 v15, v4, v9
	;; [unrolled: 1-line block ×3, first 2 shown]
	v_mul_lo_u32 v12, v6, v12
	v_mul_hi_u32 v10, v6, v9
	v_add_co_u32_e32 v13, vcc, v14, v13
	v_addc_co_u32_e32 v14, vcc, 0, v15, vcc
	v_mul_lo_u32 v9, v6, v9
	v_add_co_u32_e32 v12, vcc, v13, v12
	v_addc_co_u32_e32 v11, vcc, v14, v11, vcc
	v_addc_co_u32_e32 v10, vcc, 0, v10, vcc
	v_add_co_u32_e32 v9, vcc, v11, v9
	v_addc_co_u32_e32 v10, vcc, 0, v10, vcc
	v_add_co_u32_e32 v4, vcc, v4, v9
	v_addc_co_u32_e32 v6, vcc, v6, v10, vcc
	v_mad_u64_u32 v[9:10], s[0:1], v7, v6, 0
	v_mul_hi_u32 v11, v7, v4
	v_add_co_u32_e32 v13, vcc, v11, v9
	v_addc_co_u32_e32 v14, vcc, 0, v10, vcc
	v_mad_u64_u32 v[9:10], s[0:1], v8, v4, 0
	v_mad_u64_u32 v[11:12], s[0:1], v8, v6, 0
	v_add_co_u32_e32 v4, vcc, v13, v9
	v_addc_co_u32_e32 v4, vcc, v14, v10, vcc
	v_addc_co_u32_e32 v6, vcc, 0, v12, vcc
	v_add_co_u32_e32 v4, vcc, v4, v11
	v_addc_co_u32_e32 v6, vcc, 0, v6, vcc
	v_mul_lo_u32 v11, s25, v4
	v_mul_lo_u32 v12, s24, v6
	v_mad_u64_u32 v[9:10], s[0:1], s24, v4, 0
	v_add3_u32 v10, v10, v12, v11
	v_sub_u32_e32 v11, v8, v10
	v_mov_b32_e32 v12, s25
	v_sub_co_u32_e32 v9, vcc, v7, v9
	v_subb_co_u32_e64 v11, s[0:1], v11, v12, vcc
	v_subrev_co_u32_e64 v12, s[0:1], s24, v9
	v_subbrev_co_u32_e64 v11, s[0:1], 0, v11, s[0:1]
	v_cmp_le_u32_e64 s[0:1], s25, v11
	v_cndmask_b32_e64 v13, 0, -1, s[0:1]
	v_cmp_le_u32_e64 s[0:1], s24, v12
	v_cndmask_b32_e64 v12, 0, -1, s[0:1]
	v_cmp_eq_u32_e64 s[0:1], s25, v11
	v_cndmask_b32_e64 v11, v13, v12, s[0:1]
	v_add_co_u32_e64 v12, s[0:1], 2, v4
	v_addc_co_u32_e64 v13, s[0:1], 0, v6, s[0:1]
	v_add_co_u32_e64 v14, s[0:1], 1, v4
	v_addc_co_u32_e64 v15, s[0:1], 0, v6, s[0:1]
	v_subb_co_u32_e32 v10, vcc, v8, v10, vcc
	v_cmp_ne_u32_e64 s[0:1], 0, v11
	v_cmp_le_u32_e32 vcc, s25, v10
	v_cndmask_b32_e64 v11, v15, v13, s[0:1]
	v_cndmask_b32_e64 v13, 0, -1, vcc
	v_cmp_le_u32_e32 vcc, s24, v9
	v_cndmask_b32_e64 v9, 0, -1, vcc
	v_cmp_eq_u32_e32 vcc, s25, v10
	v_cndmask_b32_e32 v9, v13, v9, vcc
	v_cmp_ne_u32_e32 vcc, 0, v9
	v_cndmask_b32_e32 v39, v6, v11, vcc
	v_cndmask_b32_e64 v6, v14, v12, s[0:1]
	v_cndmask_b32_e32 v38, v4, v6, vcc
.LBB0_4:                                ;   in Loop: Header=BB0_2 Depth=1
	s_andn2_saveexec_b64 s[0:1], s[26:27]
	s_cbranch_execz .LBB0_6
; %bb.5:                                ;   in Loop: Header=BB0_2 Depth=1
	v_cvt_f32_u32_e32 v4, s24
	s_sub_i32 s26, 0, s24
	v_mov_b32_e32 v39, v5
	v_rcp_iflag_f32_e32 v4, v4
	v_mul_f32_e32 v4, 0x4f7ffffe, v4
	v_cvt_u32_f32_e32 v4, v4
	v_mul_lo_u32 v6, s26, v4
	v_mul_hi_u32 v6, v4, v6
	v_add_u32_e32 v4, v4, v6
	v_mul_hi_u32 v4, v7, v4
	v_mul_lo_u32 v6, v4, s24
	v_add_u32_e32 v9, 1, v4
	v_sub_u32_e32 v6, v7, v6
	v_subrev_u32_e32 v10, s24, v6
	v_cmp_le_u32_e32 vcc, s24, v6
	v_cndmask_b32_e32 v6, v6, v10, vcc
	v_cndmask_b32_e32 v4, v4, v9, vcc
	v_add_u32_e32 v9, 1, v4
	v_cmp_le_u32_e32 vcc, s24, v6
	v_cndmask_b32_e32 v38, v4, v9, vcc
.LBB0_6:                                ;   in Loop: Header=BB0_2 Depth=1
	s_or_b64 exec, exec, s[0:1]
	v_mul_lo_u32 v4, v39, s24
	v_mul_lo_u32 v6, v38, s25
	v_mad_u64_u32 v[9:10], s[0:1], v38, s24, 0
	s_load_dwordx2 s[0:1], s[6:7], 0x0
	s_load_dwordx2 s[24:25], s[2:3], 0x0
	v_add3_u32 v4, v10, v6, v4
	v_sub_co_u32_e32 v6, vcc, v7, v9
	v_subb_co_u32_e32 v4, vcc, v8, v4, vcc
	s_waitcnt lgkmcnt(0)
	v_mul_lo_u32 v7, s0, v4
	v_mul_lo_u32 v8, s1, v6
	v_mad_u64_u32 v[1:2], s[0:1], s0, v6, v[1:2]
	s_add_u32 s22, s22, 1
	s_addc_u32 s23, s23, 0
	s_add_u32 s2, s2, 8
	v_mul_lo_u32 v4, s24, v4
	v_mul_lo_u32 v9, s25, v6
	v_mad_u64_u32 v[36:37], s[0:1], s24, v6, v[36:37]
	v_add3_u32 v2, v8, v2, v7
	s_addc_u32 s3, s3, 0
	v_mov_b32_e32 v6, s14
	s_add_u32 s6, s6, 8
	v_mov_b32_e32 v7, s15
	s_addc_u32 s7, s7, 0
	v_cmp_ge_u64_e32 vcc, s[22:23], v[6:7]
	s_add_u32 s20, s20, 8
	v_add3_u32 v37, v9, v37, v4
	s_addc_u32 s21, s21, 0
	s_cbranch_vccnz .LBB0_8
; %bb.7:                                ;   in Loop: Header=BB0_2 Depth=1
	v_mov_b32_e32 v7, v38
	v_mov_b32_e32 v8, v39
	s_branch .LBB0_2
.LBB0_8:
	s_mov_b32 s0, 0x24924925
	v_mul_hi_u32 v4, v3, s0
	s_load_dwordx2 s[0:1], s[4:5], 0x28
	s_lshl_b64 s[6:7], s[14:15], 3
	s_add_u32 s4, s18, s6
	v_sub_u32_e32 v5, v3, v4
	v_lshrrev_b32_e32 v5, 1, v5
	v_add_u32_e32 v4, v5, v4
	v_lshrrev_b32_e32 v4, 2, v4
	v_mul_lo_u32 v4, v4, 7
	s_waitcnt lgkmcnt(0)
	v_cmp_gt_u64_e32 vcc, s[0:1], v[38:39]
	v_cmp_le_u64_e64 s[0:1], s[0:1], v[38:39]
	s_addc_u32 s5, s19, s7
	v_sub_u32_e32 v3, v3, v4
                                        ; implicit-def: $vgpr40
	s_and_saveexec_b64 s[2:3], s[0:1]
	s_xor_b64 s[0:1], exec, s[2:3]
; %bb.9:
	s_mov_b32 s2, 0x7878788
	v_mul_hi_u32 v1, v0, s2
	v_mul_u32_u24_e32 v1, 34, v1
	v_sub_u32_e32 v40, v0, v1
                                        ; implicit-def: $vgpr0
                                        ; implicit-def: $vgpr1_vgpr2
; %bb.10:
	s_or_saveexec_b64 s[2:3], s[0:1]
	s_load_dwordx2 s[4:5], s[4:5], 0x0
	v_mul_u32_u24_e32 v3, 0x177, v3
	v_lshlrev_b32_e32 v54, 3, v3
	s_xor_b64 exec, exec, s[2:3]
	s_cbranch_execz .LBB0_14
; %bb.11:
	s_add_u32 s0, s16, s6
	s_addc_u32 s1, s17, s7
	s_load_dwordx2 s[0:1], s[0:1], 0x0
	s_mov_b32 s6, 0x7878788
	v_mul_hi_u32 v6, v0, s6
	s_waitcnt lgkmcnt(0)
	v_mul_lo_u32 v7, s1, v38
	v_mul_lo_u32 v8, s0, v39
	v_mad_u64_u32 v[4:5], s[0:1], s0, v38, 0
	v_mul_u32_u24_e32 v6, 34, v6
	v_sub_u32_e32 v40, v0, v6
	v_add3_u32 v5, v5, v8, v7
	v_lshlrev_b64 v[4:5], 3, v[4:5]
	v_mov_b32_e32 v0, s9
	v_add_co_u32_e64 v4, s[0:1], s8, v4
	v_addc_co_u32_e64 v5, s[0:1], v0, v5, s[0:1]
	v_lshlrev_b64 v[0:1], 3, v[1:2]
	v_lshlrev_b32_e32 v2, 3, v40
	v_add_co_u32_e64 v0, s[0:1], v4, v0
	v_addc_co_u32_e64 v1, s[0:1], v5, v1, s[0:1]
	v_add_co_u32_e64 v4, s[0:1], v0, v2
	v_addc_co_u32_e64 v5, s[0:1], 0, v1, s[0:1]
	global_load_dwordx2 v[6:7], v[4:5], off
	global_load_dwordx2 v[8:9], v[4:5], off offset:272
	global_load_dwordx2 v[10:11], v[4:5], off offset:544
	;; [unrolled: 1-line block ×10, first 2 shown]
	v_add3_u32 v2, 0, v54, v2
	v_cmp_eq_u32_e64 s[0:1], 33, v40
	v_add_u32_e32 v4, 0x800, v2
	s_waitcnt vmcnt(9)
	ds_write2_b64 v2, v[6:7], v[8:9] offset1:34
	s_waitcnt vmcnt(7)
	ds_write2_b64 v2, v[10:11], v[12:13] offset0:68 offset1:102
	s_waitcnt vmcnt(5)
	ds_write2_b64 v2, v[14:15], v[16:17] offset0:136 offset1:170
	;; [unrolled: 2-line block ×4, first 2 shown]
	s_waitcnt vmcnt(0)
	ds_write_b64 v2, v[26:27] offset:2720
	s_and_saveexec_b64 s[6:7], s[0:1]
	s_cbranch_execz .LBB0_13
; %bb.12:
	global_load_dwordx2 v[0:1], v[0:1], off offset:2992
	v_mov_b32_e32 v40, 33
	s_waitcnt vmcnt(0)
	ds_write_b64 v2, v[0:1] offset:2728
.LBB0_13:
	s_or_b64 exec, exec, s[6:7]
.LBB0_14:
	s_or_b64 exec, exec, s[2:3]
	v_lshl_add_u32 v51, v3, 3, 0
	v_lshlrev_b32_e32 v4, 3, v40
	v_add_u32_e32 v53, v51, v4
	s_waitcnt lgkmcnt(0)
	s_barrier
	v_sub_u32_e32 v5, v51, v4
	ds_read_b32 v6, v53
	ds_read_b32 v7, v5 offset:2992
	v_cmp_ne_u32_e64 s[0:1], 0, v40
                                        ; implicit-def: $vgpr0_vgpr1
	s_waitcnt lgkmcnt(0)
	v_add_f32_e32 v2, v7, v6
	v_sub_f32_e32 v3, v6, v7
	s_and_saveexec_b64 s[2:3], s[0:1]
	s_xor_b64 s[2:3], exec, s[2:3]
	s_cbranch_execz .LBB0_16
; %bb.15:
	v_mov_b32_e32 v41, 0
	v_lshlrev_b64 v[0:1], 3, v[40:41]
	v_mov_b32_e32 v2, s13
	v_add_co_u32_e64 v0, s[0:1], s12, v0
	v_addc_co_u32_e64 v1, s[0:1], v2, v1, s[0:1]
	global_load_dwordx2 v[0:1], v[0:1], off offset:2856
	ds_read_b32 v2, v5 offset:2996
	ds_read_b32 v3, v53 offset:4
	v_add_f32_e32 v8, v7, v6
	v_sub_f32_e32 v9, v6, v7
	s_waitcnt lgkmcnt(0)
	v_add_f32_e32 v10, v2, v3
	v_sub_f32_e32 v2, v3, v2
	s_waitcnt vmcnt(0)
	v_fma_f32 v11, v9, v1, v8
	v_fma_f32 v3, v10, v1, v2
	v_fma_f32 v6, -v9, v1, v8
	v_fma_f32 v7, v10, v1, -v2
	v_fma_f32 v2, -v0, v10, v11
	v_fmac_f32_e32 v3, v9, v0
	v_fmac_f32_e32 v6, v0, v10
	;; [unrolled: 1-line block ×3, first 2 shown]
	v_mov_b32_e32 v0, v40
	ds_write_b64 v5, v[6:7] offset:2992
	v_mov_b32_e32 v1, v41
.LBB0_16:
	s_andn2_saveexec_b64 s[0:1], s[2:3]
	s_cbranch_execz .LBB0_18
; %bb.17:
	ds_read_b64 v[0:1], v51 offset:1496
	s_waitcnt lgkmcnt(0)
	v_add_f32_e32 v6, v0, v0
	v_mul_f32_e32 v7, -2.0, v1
	v_mov_b32_e32 v0, 0
	v_mov_b32_e32 v1, 0
	ds_write_b64 v51, v[6:7] offset:1496
.LBB0_18:
	s_or_b64 exec, exec, s[0:1]
	s_add_u32 s0, s12, 0xb28
	v_lshlrev_b64 v[0:1], 3, v[0:1]
	s_addc_u32 s1, s13, 0
	v_mov_b32_e32 v6, s1
	v_add_co_u32_e64 v0, s[0:1], s0, v0
	v_addc_co_u32_e64 v1, s[0:1], v6, v1, s[0:1]
	global_load_dwordx2 v[6:7], v[0:1], off offset:272
	global_load_dwordx2 v[8:9], v[0:1], off offset:544
	;; [unrolled: 1-line block ×4, first 2 shown]
	ds_write_b64 v53, v[2:3]
	ds_read_b64 v[2:3], v53 offset:272
	ds_read_b64 v[14:15], v5 offset:2720
	v_cmp_gt_u32_e64 s[0:1], 17, v40
	s_waitcnt lgkmcnt(0)
	v_add_f32_e32 v16, v2, v14
	v_add_f32_e32 v17, v15, v3
	v_sub_f32_e32 v18, v2, v14
	v_sub_f32_e32 v14, v3, v15
	s_waitcnt vmcnt(3)
	v_fma_f32 v19, v18, v7, v16
	v_fma_f32 v15, v17, v7, v14
	v_fma_f32 v2, -v18, v7, v16
	v_fma_f32 v3, v17, v7, -v14
	v_fma_f32 v14, -v6, v17, v19
	v_fmac_f32_e32 v15, v18, v6
	v_fmac_f32_e32 v2, v6, v17
	v_fmac_f32_e32 v3, v18, v6
	ds_write_b64 v53, v[14:15] offset:272
	ds_write_b64 v5, v[2:3] offset:2720
	ds_read_b64 v[2:3], v53 offset:544
	ds_read_b64 v[6:7], v5 offset:2448
	s_waitcnt lgkmcnt(0)
	v_add_f32_e32 v14, v2, v6
	v_add_f32_e32 v15, v7, v3
	v_sub_f32_e32 v16, v2, v6
	v_sub_f32_e32 v2, v3, v7
	s_waitcnt vmcnt(2)
	v_fma_f32 v17, v16, v9, v14
	v_fma_f32 v3, v15, v9, v2
	v_fma_f32 v6, -v16, v9, v14
	v_fma_f32 v7, v15, v9, -v2
	v_fma_f32 v2, -v8, v15, v17
	v_fmac_f32_e32 v3, v16, v8
	v_fmac_f32_e32 v6, v8, v15
	v_fmac_f32_e32 v7, v16, v8
	ds_write_b64 v53, v[2:3] offset:544
	ds_write_b64 v5, v[6:7] offset:2448
	ds_read_b64 v[2:3], v53 offset:816
	ds_read_b64 v[6:7], v5 offset:2176
	;; [unrolled: 18-line block ×3, first 2 shown]
	s_waitcnt lgkmcnt(0)
	v_add_f32_e32 v8, v2, v6
	v_add_f32_e32 v9, v7, v3
	v_sub_f32_e32 v10, v2, v6
	v_sub_f32_e32 v2, v3, v7
	s_waitcnt vmcnt(0)
	v_fma_f32 v11, v10, v13, v8
	v_fma_f32 v3, v9, v13, v2
	v_fma_f32 v6, -v10, v13, v8
	v_fma_f32 v7, v9, v13, -v2
	v_fma_f32 v2, -v12, v9, v11
	v_fmac_f32_e32 v3, v10, v12
	v_fmac_f32_e32 v6, v12, v9
	;; [unrolled: 1-line block ×3, first 2 shown]
	ds_write_b64 v53, v[2:3] offset:1088
	ds_write_b64 v5, v[6:7] offset:1904
	s_and_saveexec_b64 s[2:3], s[0:1]
	s_cbranch_execz .LBB0_20
; %bb.19:
	global_load_dwordx2 v[0:1], v[0:1], off offset:1360
	ds_read_b64 v[2:3], v53 offset:1360
	ds_read_b64 v[6:7], v5 offset:1632
	s_waitcnt lgkmcnt(0)
	v_add_f32_e32 v8, v2, v6
	v_add_f32_e32 v9, v7, v3
	v_sub_f32_e32 v10, v2, v6
	v_sub_f32_e32 v3, v3, v7
	s_waitcnt vmcnt(0)
	v_fma_f32 v11, v10, v1, v8
	v_fma_f32 v2, v9, v1, v3
	v_fma_f32 v6, -v10, v1, v8
	v_fma_f32 v7, v9, v1, -v3
	v_fma_f32 v1, -v0, v9, v11
	v_fmac_f32_e32 v2, v10, v0
	v_fmac_f32_e32 v6, v0, v9
	;; [unrolled: 1-line block ×3, first 2 shown]
	ds_write_b64 v53, v[1:2] offset:1360
	ds_write_b64 v5, v[6:7] offset:1632
.LBB0_20:
	s_or_b64 exec, exec, s[2:3]
	v_add3_u32 v52, 0, v4, v54
	s_waitcnt lgkmcnt(0)
	s_barrier
	s_barrier
	ds_read2_b64 v[16:19], v52 offset0:22 offset1:44
	v_add_u32_e32 v0, 0x800, v52
	ds_read2_b64 v[4:7], v0 offset0:74 offset1:96
	ds_read_b64 v[41:42], v53
	ds_read2_b64 v[8:11], v0 offset0:30 offset1:52
	ds_read2_b64 v[20:23], v52 offset0:66 offset1:88
	s_mov_b32 s8, 0xbf1a4643
	s_mov_b32 s9, 0xbe8c1d8e
	s_waitcnt lgkmcnt(3)
	v_sub_f32_e32 v72, v17, v7
	v_mul_f32_e32 v47, 0xbf4c4adb, v72
	v_sub_f32_e32 v73, v19, v5
	v_add_f32_e32 v55, v6, v16
	v_mov_b32_e32 v1, v47
	v_mul_f32_e32 v49, 0x3f763a35, v73
	v_fmac_f32_e32 v1, 0xbf1a4643, v55
	v_add_f32_e32 v57, v4, v18
	v_mov_b32_e32 v2, v49
	v_sub_f32_e32 v75, v16, v6
	s_waitcnt lgkmcnt(2)
	v_add_f32_e32 v1, v41, v1
	v_fmac_f32_e32 v2, 0xbe8c1d8e, v57
	v_add_f32_e32 v58, v7, v17
	v_mul_f32_e32 v48, 0xbf4c4adb, v75
	v_sub_f32_e32 v76, v18, v4
	v_add_f32_e32 v1, v2, v1
	v_fma_f32 v2, v58, s8, -v48
	v_add_f32_e32 v60, v5, v19
	v_mul_f32_e32 v104, 0x3f763a35, v76
	s_waitcnt lgkmcnt(0)
	v_sub_f32_e32 v74, v21, v11
	v_add_f32_e32 v2, v42, v2
	v_fma_f32 v0, v60, s9, -v104
	v_mul_f32_e32 v50, 0xbeb8f4ab, v74
	v_add_u32_e32 v56, 0x400, v52
	ds_read2_b64 v[28:31], v52 offset0:110 offset1:132
	ds_read2_b64 v[12:15], v56 offset0:114 offset1:136
	v_add_f32_e32 v0, v0, v2
	v_add_f32_e32 v59, v10, v20
	v_mov_b32_e32 v2, v50
	v_sub_f32_e32 v78, v20, v10
	v_fmac_f32_e32 v2, 0x3f6eb680, v59
	s_mov_b32 s14, 0x3f6eb680
	v_add_f32_e32 v62, v11, v21
	v_mul_f32_e32 v106, 0xbeb8f4ab, v78
	v_sub_f32_e32 v77, v23, v9
	v_add_f32_e32 v1, v2, v1
	v_fma_f32 v2, v62, s14, -v106
	v_mul_f32_e32 v105, 0xbf06c442, v77
	v_add_f32_e32 v0, v2, v0
	v_add_f32_e32 v61, v8, v22
	v_mov_b32_e32 v2, v105
	v_sub_f32_e32 v80, v22, v8
	v_fmac_f32_e32 v2, 0xbf59a7d5, v61
	s_mov_b32 s15, 0xbf59a7d5
	v_add_f32_e32 v64, v9, v23
	v_mul_f32_e32 v108, 0xbf06c442, v80
	s_waitcnt lgkmcnt(0)
	v_sub_f32_e32 v79, v29, v15
	v_add_f32_e32 v1, v2, v1
	v_fma_f32 v2, v64, s15, -v108
	v_mul_f32_e32 v107, 0x3f7ee86f, v79
	ds_read2_b64 v[32:35], v52 offset0:154 offset1:176
	ds_read2_b64 v[24:27], v52 offset0:198 offset1:220
	v_add_f32_e32 v0, v2, v0
	v_add_f32_e32 v63, v14, v28
	v_mov_b32_e32 v2, v107
	v_sub_f32_e32 v82, v28, v14
	v_fmac_f32_e32 v2, 0x3dbcf732, v63
	s_mov_b32 s16, 0x3dbcf732
	v_add_f32_e32 v66, v15, v29
	v_mul_f32_e32 v110, 0x3f7ee86f, v82
	v_sub_f32_e32 v81, v31, v13
	v_add_f32_e32 v1, v2, v1
	v_fma_f32 v2, v66, s16, -v110
	v_mul_f32_e32 v109, 0xbf2c7751, v81
	v_add_f32_e32 v0, v2, v0
	v_add_f32_e32 v65, v12, v30
	v_mov_b32_e32 v2, v109
	v_sub_f32_e32 v84, v30, v12
	v_fmac_f32_e32 v2, 0x3f3d2fb0, v65
	s_mov_b32 s17, 0x3f3d2fb0
	v_add_f32_e32 v68, v13, v31
	v_mul_f32_e32 v112, 0xbf2c7751, v84
	s_waitcnt lgkmcnt(0)
	v_sub_f32_e32 v83, v33, v27
	v_add_f32_e32 v1, v2, v1
	v_fma_f32 v2, v68, s17, -v112
	v_mul_f32_e32 v111, 0xbe3c28d5, v83
	v_add_f32_e32 v0, v2, v0
	v_add_f32_e32 v67, v26, v32
	v_mov_b32_e32 v2, v111
	v_sub_f32_e32 v87, v32, v26
	v_fmac_f32_e32 v2, 0xbf7ba420, v67
	s_mov_b32 s18, 0xbf7ba420
	v_add_f32_e32 v70, v27, v33
	v_mul_f32_e32 v114, 0xbe3c28d5, v87
	v_sub_f32_e32 v85, v35, v25
	v_sub_f32_e32 v86, v34, v24
	v_add_f32_e32 v1, v2, v1
	v_fma_f32 v2, v70, s18, -v114
	s_mov_b32 s19, 0x3ee437d1
	v_mul_f32_e32 v113, 0x3f65296c, v85
	v_add_f32_e32 v71, v25, v35
	v_mul_f32_e32 v115, 0x3f65296c, v86
	v_add_f32_e32 v0, v2, v0
	v_add_f32_e32 v69, v24, v34
	v_mov_b32_e32 v2, v113
	v_fma_f32 v3, v71, s19, -v115
	v_mul_f32_e32 v120, 0xbf06c442, v72
	v_fmac_f32_e32 v2, 0x3ee437d1, v69
	v_add_f32_e32 v3, v3, v0
	v_mov_b32_e32 v0, v120
	v_mul_f32_e32 v121, 0x3f65296c, v73
	v_add_f32_e32 v2, v2, v1
	v_fmac_f32_e32 v0, 0xbf59a7d5, v55
	v_mov_b32_e32 v1, v121
	v_add_f32_e32 v0, v41, v0
	v_fmac_f32_e32 v1, 0x3ee437d1, v57
	v_mul_f32_e32 v119, 0xbf7ee86f, v74
	v_add_f32_e32 v0, v1, v0
	v_mov_b32_e32 v1, v119
	v_fmac_f32_e32 v1, 0x3dbcf732, v59
	v_mul_f32_e32 v118, 0x3f4c4adb, v77
	v_add_f32_e32 v0, v1, v0
	v_mov_b32_e32 v1, v118
	;; [unrolled: 4-line block ×6, first 2 shown]
	v_fmac_f32_e32 v1, 0xbe8c1d8e, v69
	v_mul_f32_e32 v128, 0xbf06c442, v75
	v_add_f32_e32 v0, v1, v0
	v_fma_f32 v1, v58, s15, -v128
	v_mul_f32_e32 v129, 0x3f65296c, v76
	v_add_f32_e32 v1, v42, v1
	v_fma_f32 v43, v60, s19, -v129
	;; [unrolled: 3-line block ×8, first 2 shown]
	v_add_f32_e32 v1, v43, v1
	v_cmp_gt_u32_e64 s[2:3], 22, v40
	s_barrier
	s_and_saveexec_b64 s[6:7], s[2:3]
	s_cbranch_execz .LBB0_22
; %bb.21:
	v_mul_f32_e32 v88, 0xbe3c28d5, v75
	v_mov_b32_e32 v43, v88
	v_mul_f32_e32 v89, 0x3eb8f4ab, v76
	v_fmac_f32_e32 v43, 0xbf7ba420, v58
	v_mov_b32_e32 v44, v89
	v_add_f32_e32 v43, v42, v43
	v_fmac_f32_e32 v44, 0x3f6eb680, v60
	v_mul_f32_e32 v90, 0xbf06c442, v78
	v_add_f32_e32 v43, v44, v43
	v_mov_b32_e32 v44, v90
	v_fmac_f32_e32 v44, 0xbf59a7d5, v62
	v_mul_f32_e32 v91, 0x3f2c7751, v80
	v_add_f32_e32 v43, v44, v43
	v_mov_b32_e32 v44, v91
	;; [unrolled: 4-line block ×5, first 2 shown]
	v_fmac_f32_e32 v44, 0xbe8c1d8e, v70
	v_mul_f32_e32 v95, 0xbe3c28d5, v72
	v_add_f32_e32 v43, v44, v43
	v_fma_f32 v44, v55, s18, -v95
	v_mul_f32_e32 v96, 0x3eb8f4ab, v73
	v_add_f32_e32 v44, v41, v44
	v_fma_f32 v97, v57, s14, -v96
	v_add_f32_e32 v44, v97, v44
	v_mul_f32_e32 v97, 0xbf06c442, v74
	v_fma_f32 v98, v59, s15, -v97
	v_add_f32_e32 v44, v98, v44
	v_mul_f32_e32 v98, 0x3f2c7751, v77
	;; [unrolled: 3-line block ×6, first 2 shown]
	v_mov_b32_e32 v44, v102
	v_fmac_f32_e32 v44, 0x3dbcf732, v71
	v_mul_f32_e32 v103, 0x3f7ee86f, v85
	v_add_f32_e32 v44, v44, v43
	v_fma_f32 v43, v69, s16, -v103
	v_add_f32_e32 v43, v43, v130
	v_mul_f32_e32 v130, 0xbf59a7d5, v58
	v_add_f32_e32 v128, v128, v130
	v_mul_f32_e32 v130, 0x3ee437d1, v60
	v_add_f32_e32 v129, v129, v130
	v_add_f32_e32 v128, v42, v128
	;; [unrolled: 1-line block ×3, first 2 shown]
	v_mul_f32_e32 v129, 0x3dbcf732, v62
	v_add_f32_e32 v127, v127, v129
	v_add_f32_e32 v127, v127, v128
	v_mul_f32_e32 v128, 0xbf1a4643, v64
	v_add_f32_e32 v126, v126, v128
	v_add_f32_e32 v126, v126, v127
	;; [unrolled: 3-line block ×5, first 2 shown]
	v_mul_f32_e32 v124, 0xbe8c1d8e, v71
	v_add_f32_e32 v122, v122, v124
	v_mul_f32_e32 v124, 0xbf59a7d5, v55
	v_sub_f32_e32 v120, v124, v120
	v_mul_f32_e32 v124, 0x3ee437d1, v57
	v_sub_f32_e32 v121, v124, v121
	v_add_f32_e32 v120, v41, v120
	v_add_f32_e32 v120, v121, v120
	v_mul_f32_e32 v121, 0x3dbcf732, v59
	v_sub_f32_e32 v119, v121, v119
	v_add_f32_e32 v119, v119, v120
	v_mul_f32_e32 v120, 0xbf1a4643, v61
	v_sub_f32_e32 v118, v120, v118
	;; [unrolled: 3-line block ×4, first 2 shown]
	v_add_f32_e32 v116, v116, v117
	v_mul_f32_e32 v117, 0x3f3d2fb0, v67
	v_mul_f32_e32 v121, 0xbf1a4643, v55
	v_sub_f32_e32 v46, v117, v46
	v_mul_f32_e32 v119, 0xbe8c1d8e, v57
	v_add_f32_e32 v116, v46, v116
	v_mul_f32_e32 v46, 0xbe8c1d8e, v69
	v_sub_f32_e32 v47, v121, v47
	v_mul_f32_e32 v120, 0xbf1a4643, v58
	v_mul_f32_e32 v117, 0x3f6eb680, v59
	v_sub_f32_e32 v45, v46, v45
	v_add_f32_e32 v47, v41, v47
	v_sub_f32_e32 v49, v119, v49
	v_mul_f32_e32 v118, 0xbe8c1d8e, v60
	v_add_f32_e32 v45, v45, v116
	v_mul_f32_e32 v116, 0xbf59a7d5, v61
	v_add_f32_e32 v48, v48, v120
	v_add_f32_e32 v47, v49, v47
	v_sub_f32_e32 v49, v117, v50
	v_mul_f32_e32 v124, 0x3f6eb680, v62
	v_mul_f32_e32 v120, 0x3dbcf732, v63
	v_add_f32_e32 v104, v104, v118
	v_add_f32_e32 v48, v42, v48
	;; [unrolled: 1-line block ×3, first 2 shown]
	v_sub_f32_e32 v49, v116, v105
	v_add_f32_e32 v46, v122, v123
	v_mul_f32_e32 v122, 0xbf59a7d5, v64
	v_add_f32_e32 v48, v104, v48
	v_mul_f32_e32 v104, 0x3f3d2fb0, v65
	v_add_f32_e32 v106, v106, v124
	v_add_f32_e32 v47, v49, v47
	v_sub_f32_e32 v49, v120, v107
	v_add_f32_e32 v48, v106, v48
	v_mul_f32_e32 v106, 0xbf7ba420, v67
	v_add_f32_e32 v108, v108, v122
	v_add_f32_e32 v47, v49, v47
	v_sub_f32_e32 v49, v104, v109
	v_add_f32_e32 v48, v108, v48
	v_mul_f32_e32 v108, 0x3ee437d1, v69
	v_add_f32_e32 v47, v49, v47
	v_sub_f32_e32 v49, v106, v111
	v_add_f32_e32 v47, v49, v47
	v_sub_f32_e32 v49, v108, v113
	v_mul_f32_e32 v104, 0xbf763a35, v75
	v_add_f32_e32 v47, v49, v47
	v_mov_b32_e32 v49, v104
	v_mul_f32_e32 v105, 0x3f06c442, v76
	v_fmac_f32_e32 v49, 0xbe8c1d8e, v58
	v_mov_b32_e32 v50, v105
	v_add_f32_e32 v49, v42, v49
	v_fmac_f32_e32 v50, 0xbf59a7d5, v60
	v_mul_f32_e32 v107, 0x3f2c7751, v78
	v_mul_f32_e32 v118, 0x3dbcf732, v66
	v_add_f32_e32 v49, v50, v49
	v_mov_b32_e32 v50, v107
	v_mul_f32_e32 v123, 0x3f3d2fb0, v68
	v_add_f32_e32 v110, v110, v118
	v_fmac_f32_e32 v50, 0x3f3d2fb0, v62
	v_mul_f32_e32 v108, 0xbf65296c, v80
	v_mul_f32_e32 v122, 0xbf7ba420, v70
	v_add_f32_e32 v48, v110, v48
	v_add_f32_e32 v110, v112, v123
	;; [unrolled: 1-line block ×3, first 2 shown]
	v_mov_b32_e32 v50, v108
	v_mul_f32_e32 v118, 0x3ee437d1, v71
	v_add_f32_e32 v48, v110, v48
	v_add_f32_e32 v110, v114, v122
	v_fmac_f32_e32 v50, 0x3ee437d1, v64
	v_mul_f32_e32 v109, 0xbe3c28d5, v82
	v_add_f32_e32 v48, v110, v48
	v_add_f32_e32 v110, v115, v118
	;; [unrolled: 1-line block ×3, first 2 shown]
	v_mov_b32_e32 v50, v109
	v_add_f32_e32 v48, v110, v48
	v_fmac_f32_e32 v50, 0xbf7ba420, v66
	v_mul_f32_e32 v110, 0x3f7ee86f, v84
	v_add_f32_e32 v49, v50, v49
	v_mov_b32_e32 v50, v110
	v_fmac_f32_e32 v50, 0x3dbcf732, v68
	v_mul_f32_e32 v111, 0xbeb8f4ab, v87
	v_add_f32_e32 v49, v50, v49
	v_mov_b32_e32 v50, v111
	;; [unrolled: 4-line block ×3, first 2 shown]
	v_fmac_f32_e32 v50, 0xbf1a4643, v71
	v_mul_f32_e32 v118, 0xbf763a35, v72
	v_add_f32_e32 v50, v50, v49
	v_fma_f32 v49, v55, s9, -v118
	v_mul_f32_e32 v119, 0x3f06c442, v73
	v_add_f32_e32 v49, v41, v49
	v_fma_f32 v112, v57, s15, -v119
	;; [unrolled: 3-line block ×3, first 2 shown]
	v_add_f32_e32 v49, v112, v49
	v_mul_f32_e32 v112, 0xbf65296c, v77
	v_fma_f32 v113, v61, s19, -v112
	v_add_f32_e32 v49, v113, v49
	v_mul_f32_e32 v113, 0xbe3c28d5, v79
	v_fma_f32 v114, v63, s18, -v113
	v_add_f32_e32 v49, v114, v49
	v_mul_f32_e32 v114, 0x3f7ee86f, v81
	v_fma_f32 v115, v65, s16, -v114
	v_add_f32_e32 v49, v115, v49
	v_mul_f32_e32 v115, 0xbeb8f4ab, v83
	v_fma_f32 v116, v67, s14, -v115
	v_add_f32_e32 v49, v116, v49
	v_mul_f32_e32 v116, 0xbf4c4adb, v85
	v_fma_f32 v117, v69, s8, -v116
	v_add_f32_e32 v49, v117, v49
	v_mul_f32_e32 v117, 0xbf7ee86f, v75
	v_add_f32_e32 v16, v41, v16
	v_mov_b32_e32 v121, v117
	v_add_f32_e32 v17, v42, v17
	v_add_f32_e32 v16, v16, v18
	v_mul_f32_e32 v18, 0xbe3c28d5, v76
	v_fmac_f32_e32 v121, 0x3dbcf732, v58
	v_add_f32_e32 v17, v17, v19
	v_mov_b32_e32 v19, v18
	v_add_f32_e32 v121, v42, v121
	v_fmac_f32_e32 v19, 0xbf7ba420, v60
	v_add_f32_e32 v19, v19, v121
	v_mul_f32_e32 v121, 0x3f763a35, v78
	v_mov_b32_e32 v122, v121
	v_fmac_f32_e32 v122, 0xbe8c1d8e, v62
	v_add_f32_e32 v19, v122, v19
	v_mul_f32_e32 v122, 0x3eb8f4ab, v80
	v_mov_b32_e32 v123, v122
	;; [unrolled: 4-line block ×3, first 2 shown]
	v_add_f32_e32 v16, v16, v20
	v_mul_f32_e32 v20, 0xbf06c442, v84
	v_fmac_f32_e32 v124, 0x3ee437d1, v66
	v_add_f32_e32 v17, v17, v21
	v_mov_b32_e32 v21, v20
	v_add_f32_e32 v19, v124, v19
	v_fmac_f32_e32 v21, 0xbf59a7d5, v68
	v_add_f32_e32 v19, v21, v19
	v_mul_f32_e32 v21, 0x3f4c4adb, v87
	v_add_f32_e32 v16, v16, v22
	v_mov_b32_e32 v22, v21
	v_fmac_f32_e32 v22, 0xbf1a4643, v70
	v_add_f32_e32 v19, v22, v19
	v_mul_f32_e32 v22, 0xbf7ee86f, v72
	v_add_f32_e32 v17, v17, v23
	v_fma_f32 v23, v55, s16, -v22
	v_add_f32_e32 v16, v16, v28
	v_mul_f32_e32 v28, 0xbe3c28d5, v73
	v_add_f32_e32 v23, v41, v23
	v_add_f32_e32 v17, v17, v29
	v_fma_f32 v29, v57, s18, -v28
	v_add_f32_e32 v23, v29, v23
	v_mul_f32_e32 v29, 0x3f763a35, v74
	v_add_f32_e32 v16, v16, v30
	v_fma_f32 v30, v59, s9, -v29
	v_add_f32_e32 v23, v30, v23
	v_mul_f32_e32 v30, 0x3eb8f4ab, v77
	v_add_f32_e32 v16, v16, v32
	v_add_f32_e32 v17, v17, v31
	v_fma_f32 v31, v61, s14, -v30
	v_add_f32_e32 v32, v16, v34
	v_mul_f32_e32 v34, 0xbf65296c, v79
	v_add_f32_e32 v23, v31, v23
	v_fma_f32 v16, v63, s19, -v34
	v_add_f32_e32 v17, v17, v33
	v_add_f32_e32 v16, v16, v23
	v_mul_f32_e32 v23, 0xbf06c442, v81
	v_add_f32_e32 v33, v17, v35
	v_fma_f32 v17, v65, s15, -v23
	v_mul_f32_e32 v35, 0x3f4c4adb, v83
	v_mul_f32_e32 v31, 0x3f2c7751, v86
	v_add_f32_e32 v16, v17, v16
	v_fma_f32 v17, v67, s8, -v35
	v_add_f32_e32 v16, v17, v16
	v_mov_b32_e32 v17, v31
	v_fmac_f32_e32 v17, 0x3f3d2fb0, v71
	v_mul_f32_e32 v124, 0x3f2c7751, v85
	v_add_f32_e32 v17, v17, v19
	v_fma_f32 v19, v69, s17, -v124
	v_add_f32_e32 v24, v32, v24
	v_add_f32_e32 v16, v19, v16
	;; [unrolled: 1-line block ×10, first 2 shown]
	v_mul_f32_e32 v126, 0xbf65296c, v72
	v_add_f32_e32 v9, v13, v9
	v_add_f32_e32 v8, v8, v10
	v_fma_f32 v10, v55, s19, -v126
	v_mul_f32_e32 v127, 0xbf4c4adb, v73
	v_add_f32_e32 v9, v9, v11
	v_add_f32_e32 v10, v41, v10
	v_fma_f32 v11, v57, s8, -v127
	v_add_f32_e32 v4, v8, v4
	v_mul_f32_e32 v128, 0x3e3c28d5, v74
	v_add_f32_e32 v10, v11, v10
	v_add_f32_e32 v5, v9, v5
	;; [unrolled: 1-line block ×3, first 2 shown]
	v_fma_f32 v6, v59, s18, -v128
	v_mul_f32_e32 v129, 0x3f763a35, v77
	v_add_f32_e32 v5, v5, v7
	v_add_f32_e32 v6, v6, v10
	v_fma_f32 v7, v61, s9, -v129
	v_mul_f32_e32 v130, 0x3f2c7751, v79
	v_add_f32_e32 v6, v7, v6
	v_fma_f32 v7, v63, s17, -v130
	v_mul_f32_e32 v131, 0xbeb8f4ab, v81
	;; [unrolled: 3-line block ×5, first 2 shown]
	v_add_f32_e32 v6, v8, v6
	v_mov_b32_e32 v8, v135
	v_mul_f32_e32 v136, 0xbf7ee86f, v76
	v_fmac_f32_e32 v8, 0x3f3d2fb0, v58
	v_mov_b32_e32 v9, v136
	v_add_f32_e32 v8, v42, v8
	v_fmac_f32_e32 v9, 0x3dbcf732, v60
	v_mul_f32_e32 v137, 0xbf4c4adb, v78
	v_add_f32_e32 v8, v9, v8
	v_mov_b32_e32 v9, v137
	v_fmac_f32_e32 v9, 0xbf1a4643, v62
	v_mul_f32_e32 v138, 0xbe3c28d5, v80
	v_add_f32_e32 v8, v9, v8
	v_mov_b32_e32 v9, v138
	;; [unrolled: 4-line block ×5, first 2 shown]
	v_fmac_f32_e32 v9, 0x3ee437d1, v70
	v_mul_f32_e32 v142, 0xbf2c7751, v72
	v_add_f32_e32 v8, v9, v8
	v_fma_f32 v9, v55, s17, -v142
	v_mul_f32_e32 v143, 0xbf7ee86f, v73
	v_add_f32_e32 v9, v41, v9
	v_fma_f32 v10, v57, s16, -v143
	;; [unrolled: 3-line block ×7, first 2 shown]
	v_mul_f32_e32 v149, 0x3eb8f4ab, v86
	v_add_f32_e32 v10, v10, v9
	v_mov_b32_e32 v9, v149
	v_mul_f32_e32 v25, 0xbf65296c, v75
	v_fmac_f32_e32 v9, 0x3f6eb680, v71
	v_mul_f32_e32 v150, 0x3eb8f4ab, v85
	v_mov_b32_e32 v26, v25
	v_mul_f32_e32 v27, 0xbf4c4adb, v76
	v_add_f32_e32 v9, v9, v8
	v_fma_f32 v8, v69, s14, -v150
	v_mul_f32_e32 v75, 0xbeb8f4ab, v75
	v_fmac_f32_e32 v26, 0x3ee437d1, v58
	v_mov_b32_e32 v32, v27
	v_add_f32_e32 v8, v8, v10
	v_mov_b32_e32 v10, v75
	v_mul_f32_e32 v76, 0xbf2c7751, v76
	v_add_f32_e32 v26, v42, v26
	v_fmac_f32_e32 v32, 0xbf1a4643, v60
	v_fmac_f32_e32 v10, 0x3f6eb680, v58
	v_mov_b32_e32 v11, v76
	v_add_f32_e32 v26, v32, v26
	v_mul_f32_e32 v32, 0x3e3c28d5, v78
	v_add_f32_e32 v10, v42, v10
	v_fmac_f32_e32 v11, 0x3f3d2fb0, v60
	v_mul_f32_e32 v78, 0xbf65296c, v78
	v_mov_b32_e32 v33, v32
	v_mul_f32_e32 v24, 0x3f763a35, v80
	v_add_f32_e32 v10, v11, v10
	v_mov_b32_e32 v11, v78
	v_fmac_f32_e32 v33, 0xbf7ba420, v62
	v_mov_b32_e32 v14, v24
	v_fmac_f32_e32 v11, 0x3ee437d1, v62
	v_mul_f32_e32 v80, 0xbf7ee86f, v80
	v_add_f32_e32 v26, v33, v26
	v_fmac_f32_e32 v14, 0xbe8c1d8e, v64
	v_add_f32_e32 v10, v11, v10
	v_mov_b32_e32 v11, v80
	v_add_f32_e32 v14, v14, v26
	v_mul_f32_e32 v26, 0x3f2c7751, v82
	v_fmac_f32_e32 v11, 0x3dbcf732, v64
	v_mul_f32_e32 v82, 0xbf763a35, v82
	v_add_f32_e32 v10, v11, v10
	v_mov_b32_e32 v11, v82
	v_mul_f32_e32 v33, 0xbeb8f4ab, v84
	v_fmac_f32_e32 v11, 0xbe8c1d8e, v66
	v_mul_f32_e32 v84, 0xbf4c4adb, v84
	v_add_f32_e32 v10, v11, v10
	v_mov_b32_e32 v11, v84
	;; [unrolled: 5-line block ×3, first 2 shown]
	v_fmac_f32_e32 v11, 0xbf59a7d5, v70
	v_mul_f32_e32 v72, 0xbeb8f4ab, v72
	v_add_f32_e32 v10, v11, v10
	v_fma_f32 v11, v55, s14, -v72
	v_mul_f32_e32 v73, 0xbf2c7751, v73
	v_add_f32_e32 v11, v41, v11
	v_fma_f32 v12, v57, s17, -v73
	v_mul_f32_e32 v74, 0xbf65296c, v74
	v_add_f32_e32 v11, v12, v11
	v_fma_f32 v12, v59, s19, -v74
	v_mul_f32_e32 v77, 0xbf7ee86f, v77
	v_add_f32_e32 v11, v12, v11
	v_fma_f32 v12, v61, s16, -v77
	v_mul_f32_e32 v79, 0xbf763a35, v79
	v_add_f32_e32 v11, v12, v11
	v_fma_f32 v12, v63, s9, -v79
	v_mul_f32_e32 v81, 0xbf4c4adb, v81
	v_add_f32_e32 v11, v12, v11
	v_fma_f32 v12, v65, s8, -v81
	v_mul_f32_e32 v83, 0xbf06c442, v83
	v_mul_f32_e32 v133, 0xbf06c442, v86
	v_add_f32_e32 v11, v12, v11
	v_fma_f32 v12, v67, s15, -v83
	v_mul_f32_e32 v86, 0xbe3c28d5, v86
	v_add_f32_e32 v12, v12, v11
	v_mov_b32_e32 v11, v86
	v_fmac_f32_e32 v11, 0xbf7ba420, v71
	v_mul_f32_e32 v85, 0xbe3c28d5, v85
	v_add_f32_e32 v11, v11, v10
	v_fma_f32 v10, v69, s18, -v85
	v_add_f32_e32 v10, v10, v12
	v_fma_f32 v12, v58, s18, -v88
	;; [unrolled: 2-line block ×7, first 2 shown]
	v_mov_b32_e32 v15, v26
	v_add_f32_e32 v12, v13, v12
	v_fma_f32 v13, v70, s9, -v94
	v_fmac_f32_e32 v95, 0xbf7ba420, v55
	v_fmac_f32_e32 v15, 0x3f3d2fb0, v66
	v_add_f32_e32 v12, v13, v12
	v_add_f32_e32 v13, v41, v95
	v_fmac_f32_e32 v96, 0x3f6eb680, v57
	v_add_f32_e32 v14, v15, v14
	v_mov_b32_e32 v15, v33
	v_add_f32_e32 v13, v96, v13
	v_fmac_f32_e32 v97, 0xbf59a7d5, v59
	v_fmac_f32_e32 v15, 0x3f6eb680, v68
	v_add_f32_e32 v13, v97, v13
	v_fmac_f32_e32 v98, 0x3f3d2fb0, v61
	v_add_f32_e32 v14, v15, v14
	v_mov_b32_e32 v15, v125
	v_add_f32_e32 v13, v98, v13
	v_fmac_f32_e32 v99, 0xbf1a4643, v63
	v_fmac_f32_e32 v15, 0x3dbcf732, v70
	v_mov_b32_e32 v7, v133
	v_add_f32_e32 v13, v99, v13
	v_fmac_f32_e32 v100, 0x3ee437d1, v65
	v_add_f32_e32 v14, v15, v14
	v_fmac_f32_e32 v7, 0xbf59a7d5, v71
	;; [unrolled: 2-line block ×3, first 2 shown]
	v_add_f32_e32 v7, v7, v14
	v_add_f32_e32 v14, v101, v13
	v_fma_f32 v13, v71, s16, -v102
	v_fmac_f32_e32 v103, 0x3dbcf732, v69
	v_add_f32_e32 v13, v13, v12
	v_add_f32_e32 v12, v103, v14
	v_fma_f32 v14, v58, s9, -v104
	v_add_f32_e32 v14, v42, v14
	v_fma_f32 v15, v60, s15, -v105
	;; [unrolled: 2-line block ×7, first 2 shown]
	v_fmac_f32_e32 v118, 0xbe8c1d8e, v55
	v_add_f32_e32 v14, v15, v14
	v_add_f32_e32 v15, v41, v118
	v_fmac_f32_e32 v119, 0xbf59a7d5, v57
	v_add_f32_e32 v15, v119, v15
	v_fmac_f32_e32 v120, 0x3f3d2fb0, v59
	v_add_f32_e32 v19, v120, v15
	v_fma_f32 v15, v71, s8, -v106
	v_fmac_f32_e32 v112, 0x3ee437d1, v61
	v_add_f32_e32 v15, v15, v14
	v_add_f32_e32 v14, v112, v19
	v_fma_f32 v19, v58, s16, -v117
	v_add_f32_e32 v19, v42, v19
	v_fma_f32 v18, v60, s18, -v18
	;; [unrolled: 2-line block ×8, first 2 shown]
	v_fmac_f32_e32 v22, 0x3dbcf732, v55
	v_add_f32_e32 v19, v19, v18
	v_add_f32_e32 v18, v41, v22
	v_fmac_f32_e32 v28, 0xbf7ba420, v57
	v_add_f32_e32 v18, v28, v18
	v_fmac_f32_e32 v29, 0xbe8c1d8e, v59
	v_fma_f32 v20, v58, s19, -v25
	v_add_f32_e32 v18, v29, v18
	v_fmac_f32_e32 v30, 0x3f6eb680, v61
	v_add_f32_e32 v20, v42, v20
	v_fma_f32 v21, v60, s8, -v27
	v_add_f32_e32 v18, v30, v18
	v_fmac_f32_e32 v34, 0x3ee437d1, v63
	v_add_f32_e32 v20, v21, v20
	;; [unrolled: 4-line block ×3, first 2 shown]
	v_fma_f32 v21, v64, s9, -v24
	v_fma_f32 v22, v58, s17, -v135
	;; [unrolled: 1-line block ×3, first 2 shown]
	v_add_f32_e32 v18, v23, v18
	v_add_f32_e32 v22, v42, v22
	v_fma_f32 v23, v60, s16, -v136
	v_add_f32_e32 v24, v42, v24
	v_fma_f32 v25, v60, s17, -v76
	;; [unrolled: 2-line block ×16, first 2 shown]
	v_fmac_f32_e32 v126, 0x3ee437d1, v55
	v_add_f32_e32 v22, v23, v22
	v_fma_f32 v23, v71, s14, -v149
	v_fmac_f32_e32 v142, 0x3f3d2fb0, v55
	v_add_f32_e32 v24, v25, v24
	v_fma_f32 v25, v71, s18, -v86
	v_fmac_f32_e32 v72, 0x3f6eb680, v55
	v_add_f32_e32 v21, v21, v20
	v_add_f32_e32 v20, v41, v126
	v_fmac_f32_e32 v127, 0xbf1a4643, v57
	v_add_f32_e32 v23, v23, v22
	v_add_f32_e32 v22, v41, v142
	;; [unrolled: 3-line block ×3, first 2 shown]
	v_fmac_f32_e32 v73, 0x3f3d2fb0, v57
	v_add_f32_e32 v20, v127, v20
	v_fmac_f32_e32 v128, 0xbf7ba420, v59
	v_add_f32_e32 v22, v143, v22
	v_fmac_f32_e32 v144, 0xbf1a4643, v59
	v_add_f32_e32 v24, v73, v24
	v_fmac_f32_e32 v74, 0x3ee437d1, v59
	v_add_f32_e32 v20, v128, v20
	v_fmac_f32_e32 v129, 0xbe8c1d8e, v61
	v_add_f32_e32 v22, v144, v22
	v_fmac_f32_e32 v145, 0xbf7ba420, v61
	v_add_f32_e32 v24, v74, v24
	v_fmac_f32_e32 v77, 0x3dbcf732, v61
	v_fmac_f32_e32 v113, 0xbf7ba420, v63
	v_add_f32_e32 v20, v129, v20
	v_fmac_f32_e32 v130, 0x3f3d2fb0, v63
	v_add_f32_e32 v22, v145, v22
	v_fmac_f32_e32 v146, 0xbf59a7d5, v63
	v_add_f32_e32 v24, v77, v24
	v_fmac_f32_e32 v79, 0xbe8c1d8e, v63
	v_add_f32_e32 v14, v113, v14
	v_fmac_f32_e32 v114, 0x3dbcf732, v65
	v_add_f32_e32 v20, v130, v20
	v_fmac_f32_e32 v131, 0x3f6eb680, v65
	v_add_f32_e32 v22, v146, v22
	v_fmac_f32_e32 v147, 0xbe8c1d8e, v65
	v_add_f32_e32 v24, v79, v24
	v_fmac_f32_e32 v81, 0xbf1a4643, v65
	v_add_f32_e32 v14, v114, v14
	v_fmac_f32_e32 v115, 0x3f6eb680, v67
	v_fmac_f32_e32 v35, 0xbf1a4643, v67
	v_add_f32_e32 v20, v131, v20
	v_fmac_f32_e32 v132, 0x3dbcf732, v67
	v_add_f32_e32 v22, v147, v22
	;; [unrolled: 2-line block ×3, first 2 shown]
	v_fmac_f32_e32 v83, 0xbf59a7d5, v67
	v_mul_u32_u24_e32 v26, 0x88, v40
	v_add_f32_e32 v14, v115, v14
	v_fmac_f32_e32 v116, 0xbf1a4643, v69
	v_add_f32_e32 v18, v35, v18
	v_fmac_f32_e32 v124, 0x3f3d2fb0, v69
	;; [unrolled: 2-line block ×5, first 2 shown]
	v_add3_u32 v26, 0, v26, v54
	v_add_f32_e32 v14, v116, v14
	v_add_f32_e32 v18, v124, v18
	;; [unrolled: 1-line block ×5, first 2 shown]
	ds_write2_b64 v26, v[4:5], v[10:11] offset1:1
	ds_write2_b64 v26, v[8:9], v[6:7] offset0:2 offset1:3
	ds_write2_b64 v26, v[16:17], v[49:50] offset0:4 offset1:5
	;; [unrolled: 1-line block ×7, first 2 shown]
	ds_write_b64 v26, v[24:25] offset:128
.LBB0_22:
	s_or_b64 exec, exec, s[6:7]
	s_waitcnt lgkmcnt(0)
	s_barrier
	ds_read2_b64 v[12:15], v52 offset0:187 offset1:221
	ds_read2_b64 v[4:7], v52 offset0:34 offset1:68
	;; [unrolled: 1-line block ×4, first 2 shown]
	ds_read_b64 v[20:21], v53
	ds_read_b64 v[22:23], v52 offset:2584
	s_and_saveexec_b64 s[2:3], s[0:1]
	s_cbranch_execz .LBB0_24
; %bb.23:
	v_add_u32_e32 v0, 0x400, v52
	ds_read2_b64 v[0:3], v0 offset0:42 offset1:229
.LBB0_24:
	s_or_b64 exec, exec, s[2:3]
	v_subrev_u32_e32 v24, 17, v40
	v_cndmask_b32_e64 v25, v24, v40, s[0:1]
	v_mov_b32_e32 v26, 0
	v_lshlrev_b64 v[26:27], 3, v[25:26]
	v_mov_b32_e32 v24, s13
	v_add_co_u32_e64 v26, s[2:3], s12, v26
	v_addc_co_u32_e64 v27, s[2:3], v24, v27, s[2:3]
	v_add_u16_e32 v24, 34, v40
	s_movk_i32 s6, 0xf1
	v_mul_lo_u16_sdwa v28, v24, s6 dst_sel:DWORD dst_unused:UNUSED_PAD src0_sel:BYTE_0 src1_sel:DWORD
	v_lshrrev_b16_e32 v41, 12, v28
	v_mul_lo_u16_e32 v28, 17, v41
	v_sub_u16_e32 v28, v24, v28
	v_mov_b32_e32 v24, 3
	v_lshlrev_b32_sdwa v42, v24, v28 dst_sel:DWORD dst_unused:UNUSED_PAD src0_sel:DWORD src1_sel:BYTE_0
	v_add_u16_e32 v28, 0x44, v40
	v_mul_lo_u16_sdwa v29, v28, s6 dst_sel:DWORD dst_unused:UNUSED_PAD src0_sel:BYTE_0 src1_sel:DWORD
	v_lshrrev_b16_e32 v43, 12, v29
	v_mul_lo_u16_e32 v29, 17, v43
	v_sub_u16_e32 v28, v28, v29
	v_lshlrev_b32_sdwa v44, v24, v28 dst_sel:DWORD dst_unused:UNUSED_PAD src0_sel:DWORD src1_sel:BYTE_0
	v_add_u16_e32 v28, 0x66, v40
	v_mul_lo_u16_sdwa v29, v28, s6 dst_sel:DWORD dst_unused:UNUSED_PAD src0_sel:BYTE_0 src1_sel:DWORD
	v_lshrrev_b16_e32 v45, 12, v29
	v_mul_lo_u16_e32 v29, 17, v45
	v_sub_u16_e32 v28, v28, v29
	v_lshlrev_b32_sdwa v46, v24, v28 dst_sel:DWORD dst_unused:UNUSED_PAD src0_sel:DWORD src1_sel:BYTE_0
	global_load_dwordx2 v[28:29], v[26:27], off
	global_load_dwordx2 v[30:31], v42, s[12:13]
	global_load_dwordx2 v[32:33], v44, s[12:13]
	;; [unrolled: 1-line block ×3, first 2 shown]
	v_add_u16_e32 v26, 0x88, v40
	v_mul_lo_u16_sdwa v27, v26, s6 dst_sel:DWORD dst_unused:UNUSED_PAD src0_sel:BYTE_0 src1_sel:DWORD
	v_lshrrev_b16_e32 v47, 12, v27
	v_mul_lo_u16_e32 v27, 17, v47
	v_sub_u16_e32 v26, v26, v27
	v_lshlrev_b32_sdwa v48, v24, v26 dst_sel:DWORD dst_unused:UNUSED_PAD src0_sel:DWORD src1_sel:BYTE_0
	global_load_dwordx2 v[26:27], v48, s[12:13]
	v_mov_b32_e32 v49, 0x110
	v_cmp_lt_u32_e64 s[2:3], 16, v40
	v_cndmask_b32_e64 v49, 0, v49, s[2:3]
	v_add_u32_e32 v49, 0, v49
	v_lshlrev_b32_e32 v25, 3, v25
	v_add3_u32 v25, v49, v25, v54
	s_movk_i32 s7, 0x110
	s_waitcnt vmcnt(0) lgkmcnt(0)
	s_barrier
	v_mul_f32_e32 v49, v29, v13
	v_mul_f32_e32 v29, v29, v12
	v_fma_f32 v12, v28, v12, -v49
	v_fmac_f32_e32 v29, v28, v13
	v_mul_f32_e32 v13, v31, v15
	v_mul_f32_e32 v28, v31, v14
	v_fma_f32 v55, v30, v14, -v13
	v_sub_f32_e32 v12, v20, v12
	v_sub_f32_e32 v13, v21, v29
	v_mul_f32_e32 v31, v33, v17
	v_mul_f32_e32 v33, v33, v16
	v_fmac_f32_e32 v28, v30, v15
	v_fma_f32 v14, v20, 2.0, -v12
	v_fma_f32 v15, v21, 2.0, -v13
	v_fma_f32 v30, v32, v16, -v31
	v_fmac_f32_e32 v33, v32, v17
	v_sub_f32_e32 v16, v4, v55
	v_sub_f32_e32 v17, v5, v28
	ds_write2_b64 v25, v[14:15], v[12:13] offset1:17
	v_mad_u32_u24 v12, v41, s7, 0
	v_mul_f32_e32 v49, v35, v19
	v_mul_f32_e32 v35, v35, v18
	v_fma_f32 v4, v4, 2.0, -v16
	v_fma_f32 v5, v5, 2.0, -v17
	v_add3_u32 v12, v12, v42, v54
	v_fma_f32 v31, v34, v18, -v49
	v_fmac_f32_e32 v35, v34, v19
	v_sub_f32_e32 v18, v6, v30
	v_sub_f32_e32 v19, v7, v33
	ds_write2_b64 v12, v[4:5], v[16:17] offset1:17
	v_mad_u32_u24 v4, v43, s7, 0
	v_fma_f32 v6, v6, 2.0, -v18
	v_fma_f32 v7, v7, 2.0, -v19
	v_add3_u32 v4, v4, v44, v54
	v_mul_f32_e32 v50, v27, v23
	v_mul_f32_e32 v27, v27, v22
	v_sub_f32_e32 v20, v8, v31
	v_sub_f32_e32 v21, v9, v35
	ds_write2_b64 v4, v[6:7], v[18:19] offset1:17
	v_mad_u32_u24 v4, v45, s7, 0
	v_fma_f32 v22, v26, v22, -v50
	v_fmac_f32_e32 v27, v26, v23
	v_fma_f32 v8, v8, 2.0, -v20
	v_fma_f32 v9, v9, 2.0, -v21
	v_add3_u32 v4, v4, v46, v54
	v_sub_f32_e32 v22, v10, v22
	v_sub_f32_e32 v23, v11, v27
	ds_write2_b64 v4, v[8:9], v[20:21] offset1:17
	v_mad_u32_u24 v4, v47, s7, 0
	v_fma_f32 v10, v10, 2.0, -v22
	v_fma_f32 v11, v11, 2.0, -v23
	v_add3_u32 v4, v4, v48, v54
	ds_write2_b64 v4, v[10:11], v[22:23] offset1:17
	s_and_saveexec_b64 s[2:3], s[0:1]
	s_cbranch_execz .LBB0_26
; %bb.25:
	v_add_u16_e32 v4, 0xaa, v40
	v_mul_lo_u16_sdwa v5, v4, s6 dst_sel:DWORD dst_unused:UNUSED_PAD src0_sel:BYTE_0 src1_sel:DWORD
	v_lshrrev_b16_e32 v5, 12, v5
	v_mul_lo_u16_e32 v5, 17, v5
	v_sub_u16_e32 v4, v4, v5
	v_lshlrev_b32_sdwa v6, v24, v4 dst_sel:DWORD dst_unused:UNUSED_PAD src0_sel:DWORD src1_sel:BYTE_0
	global_load_dwordx2 v[4:5], v6, s[12:13]
	v_add3_u32 v6, 0, v6, v54
	s_waitcnt vmcnt(0)
	v_mul_f32_e32 v7, v2, v5
	v_mul_f32_e32 v5, v3, v5
	v_fmac_f32_e32 v7, v3, v4
	v_fma_f32 v2, v2, v4, -v5
	v_sub_f32_e32 v3, v1, v7
	v_sub_f32_e32 v2, v0, v2
	v_fma_f32 v1, v1, 2.0, -v3
	v_fma_f32 v0, v0, 2.0, -v2
	v_add_u32_e32 v4, 0x800, v6
	ds_write2_b64 v4, v[0:1], v[2:3] offset0:84 offset1:101
.LBB0_26:
	s_or_b64 exec, exec, s[2:3]
	v_mul_u32_u24_e32 v0, 10, v40
	v_lshlrev_b32_e32 v20, 3, v0
	s_waitcnt lgkmcnt(0)
	s_barrier
	global_load_dwordx4 v[0:3], v20, s[12:13] offset:136
	global_load_dwordx4 v[4:7], v20, s[12:13] offset:152
	;; [unrolled: 1-line block ×5, first 2 shown]
	v_add_u32_e32 v32, 0x400, v52
	ds_read2_b64 v[20:23], v52 offset0:34 offset1:68
	ds_read2_b64 v[24:27], v52 offset0:102 offset1:136
	;; [unrolled: 1-line block ×3, first 2 shown]
	v_add_u32_e32 v47, 0x800, v52
	ds_read_b64 v[41:42], v53
	ds_read_b64 v[43:44], v52 offset:2720
	ds_read2_b32 v[45:46], v32 offset0:84 offset1:85
	ds_read2_b64 v[32:35], v47 offset0:16 offset1:50
	s_mov_b32 s0, 0x3f575c64
	s_mov_b32 s6, 0xbf75a155
	;; [unrolled: 1-line block ×5, first 2 shown]
	s_waitcnt vmcnt(0) lgkmcnt(0)
	s_barrier
	v_mul_f32_e32 v48, v1, v21
	v_mul_f32_e32 v1, v1, v20
	v_mul_f32_e32 v49, v3, v23
	v_mul_f32_e32 v3, v3, v22
	v_mul_f32_e32 v50, v5, v25
	v_mul_f32_e32 v5, v5, v24
	v_mul_f32_e32 v53, v7, v27
	v_mul_f32_e32 v7, v7, v26
	v_mul_f32_e32 v54, v46, v9
	v_mul_f32_e32 v9, v9, v45
	v_mul_f32_e32 v55, v29, v11
	v_mul_f32_e32 v11, v28, v11
	v_mul_f32_e32 v56, v31, v13
	v_mul_f32_e32 v13, v30, v13
	v_mul_f32_e32 v57, v33, v15
	v_mul_f32_e32 v15, v32, v15
	v_mul_f32_e32 v58, v35, v17
	v_mul_f32_e32 v17, v34, v17
	v_mul_f32_e32 v59, v44, v19
	v_mul_f32_e32 v19, v43, v19
	v_fma_f32 v20, v0, v20, -v48
	v_fmac_f32_e32 v1, v0, v21
	v_fma_f32 v21, v2, v22, -v49
	v_fmac_f32_e32 v3, v2, v23
	;; [unrolled: 2-line block ×10, first 2 shown]
	v_add_f32_e32 v16, v20, v41
	v_add_f32_e32 v18, v1, v42
	;; [unrolled: 1-line block ×3, first 2 shown]
	v_sub_f32_e32 v24, v1, v19
	v_add_f32_e32 v1, v16, v21
	v_add_f32_e32 v16, v18, v3
	;; [unrolled: 1-line block ×15, first 2 shown]
	v_sub_f32_e32 v20, v20, v0
	v_add_f32_e32 v1, v1, v14
	v_add_f32_e32 v16, v16, v17
	v_mul_f32_e32 v18, 0xbf0a6770, v24
	v_mul_f32_e32 v25, 0xbf0a6770, v20
	v_add_f32_e32 v0, v1, v0
	v_add_f32_e32 v1, v16, v19
	v_mul_f32_e32 v19, 0xbf68dda4, v24
	v_mul_f32_e32 v30, 0xbf7d64f0, v24
	;; [unrolled: 1-line block ×4, first 2 shown]
	v_mov_b32_e32 v27, v25
	v_fma_f32 v25, v23, s0, -v25
	v_mul_f32_e32 v28, 0xbf68dda4, v20
	v_mul_f32_e32 v32, 0xbf7d64f0, v20
	;; [unrolled: 1-line block ×3, first 2 shown]
	v_fma_f32 v45, v22, s6, -v24
	v_mul_f32_e32 v20, 0xbe903f40, v20
	v_fmac_f32_e32 v24, 0xbf75a155, v22
	v_fma_f32 v26, v22, s0, -v18
	v_fmac_f32_e32 v18, 0x3f575c64, v22
	v_add_f32_e32 v16, v25, v42
	v_fma_f32 v25, v22, s1, -v19
	v_mov_b32_e32 v29, v28
	v_fmac_f32_e32 v19, 0x3ed4b147, v22
	v_fma_f32 v31, v22, s2, -v30
	v_mov_b32_e32 v33, v32
	v_fmac_f32_e32 v30, 0xbe11bafb, v22
	;; [unrolled: 3-line block ×3, first 2 shown]
	v_mov_b32_e32 v46, v20
	v_add_f32_e32 v22, v24, v41
	v_add_f32_e32 v24, v3, v17
	v_sub_f32_e32 v3, v3, v17
	v_fmac_f32_e32 v27, 0x3f575c64, v23
	v_fmac_f32_e32 v29, 0x3ed4b147, v23
	v_fma_f32 v28, v23, s1, -v28
	v_fmac_f32_e32 v33, 0xbe11bafb, v23
	v_fma_f32 v32, v23, s2, -v32
	;; [unrolled: 2-line block ×4, first 2 shown]
	v_add_f32_e32 v23, v21, v14
	v_mul_f32_e32 v17, 0xbf68dda4, v3
	v_add_f32_e32 v26, v26, v41
	v_sub_f32_e32 v14, v21, v14
	v_fma_f32 v21, v23, s1, -v17
	v_add_f32_e32 v18, v18, v41
	v_add_f32_e32 v21, v21, v26
	v_mul_f32_e32 v26, 0xbf68dda4, v14
	v_fmac_f32_e32 v17, 0x3ed4b147, v23
	v_add_f32_e32 v17, v17, v18
	v_fma_f32 v18, v24, s1, -v26
	v_add_f32_e32 v16, v18, v16
	v_mul_f32_e32 v18, 0xbf4178ce, v3
	v_add_f32_e32 v25, v25, v41
	v_add_f32_e32 v19, v19, v41
	;; [unrolled: 1-line block ×7, first 2 shown]
	v_mov_b32_e32 v41, v26
	v_fma_f32 v26, v23, s3, -v18
	v_add_f32_e32 v27, v27, v42
	v_fmac_f32_e32 v41, 0x3ed4b147, v24
	v_add_f32_e32 v25, v26, v25
	v_mul_f32_e32 v26, 0xbf4178ce, v14
	v_fmac_f32_e32 v18, 0xbf27a4f4, v23
	v_add_f32_e32 v28, v28, v42
	v_add_f32_e32 v27, v41, v27
	v_mov_b32_e32 v41, v26
	v_add_f32_e32 v18, v18, v19
	v_fma_f32 v19, v24, s3, -v26
	v_mul_f32_e32 v26, 0x3e903f40, v3
	v_add_f32_e32 v19, v19, v28
	v_fma_f32 v28, v23, s6, -v26
	v_add_f32_e32 v29, v29, v42
	v_fmac_f32_e32 v41, 0xbf27a4f4, v24
	v_add_f32_e32 v28, v28, v31
	v_mul_f32_e32 v31, 0x3e903f40, v14
	v_fmac_f32_e32 v26, 0xbf75a155, v23
	v_add_f32_e32 v32, v32, v42
	v_add_f32_e32 v29, v41, v29
	v_mov_b32_e32 v41, v31
	v_add_f32_e32 v26, v26, v30
	v_fma_f32 v30, v24, s6, -v31
	v_mul_f32_e32 v31, 0x3f7d64f0, v3
	v_add_f32_e32 v30, v30, v32
	v_fma_f32 v32, v23, s2, -v31
	v_add_f32_e32 v33, v33, v42
	v_fmac_f32_e32 v41, 0xbf75a155, v24
	v_add_f32_e32 v32, v32, v35
	v_mul_f32_e32 v35, 0x3f7d64f0, v14
	v_fmac_f32_e32 v31, 0xbe11bafb, v23
	v_mul_f32_e32 v3, 0x3f0a6770, v3
	v_add_f32_e32 v33, v41, v33
	v_mov_b32_e32 v41, v35
	v_add_f32_e32 v31, v31, v34
	v_fma_f32 v34, v24, s2, -v35
	v_fma_f32 v35, v23, s0, -v3
	v_mul_f32_e32 v14, 0x3f0a6770, v14
	v_fmac_f32_e32 v3, 0x3f575c64, v23
	v_add_f32_e32 v44, v44, v42
	v_add_f32_e32 v43, v43, v42
	;; [unrolled: 1-line block ×4, first 2 shown]
	v_mov_b32_e32 v42, v14
	v_add_f32_e32 v3, v3, v22
	v_fma_f32 v14, v24, s0, -v14
	v_add_f32_e32 v22, v5, v15
	v_sub_f32_e32 v5, v5, v15
	v_add_f32_e32 v14, v14, v20
	v_add_f32_e32 v20, v2, v12
	v_sub_f32_e32 v2, v2, v12
	v_mul_f32_e32 v12, 0xbf7d64f0, v5
	v_fma_f32 v15, v20, s2, -v12
	v_add_f32_e32 v15, v15, v21
	v_mul_f32_e32 v21, 0xbf7d64f0, v2
	v_fmac_f32_e32 v12, 0xbe11bafb, v20
	v_add_f32_e32 v12, v12, v17
	v_fma_f32 v17, v22, s2, -v21
	v_add_f32_e32 v16, v17, v16
	v_mul_f32_e32 v17, 0x3e903f40, v5
	v_fmac_f32_e32 v41, 0xbe11bafb, v24
	v_fmac_f32_e32 v42, 0x3f575c64, v24
	v_mov_b32_e32 v23, v21
	v_fma_f32 v21, v20, s6, -v17
	v_mul_f32_e32 v24, 0x3e903f40, v2
	v_fmac_f32_e32 v17, 0xbf75a155, v20
	v_add_f32_e32 v17, v17, v18
	v_fma_f32 v18, v22, s6, -v24
	v_fmac_f32_e32 v23, 0xbe11bafb, v22
	v_add_f32_e32 v18, v18, v19
	v_mul_f32_e32 v19, 0x3f68dda4, v5
	v_add_f32_e32 v23, v23, v27
	v_add_f32_e32 v21, v21, v25
	v_mov_b32_e32 v25, v24
	v_fma_f32 v24, v20, s1, -v19
	v_mul_f32_e32 v27, 0x3f68dda4, v2
	v_fmac_f32_e32 v19, 0x3ed4b147, v20
	v_add_f32_e32 v24, v24, v28
	v_mov_b32_e32 v28, v27
	v_add_f32_e32 v19, v19, v26
	v_fma_f32 v26, v22, s1, -v27
	v_fmac_f32_e32 v25, 0xbf75a155, v22
	v_fmac_f32_e32 v28, 0x3ed4b147, v22
	v_add_f32_e32 v26, v26, v30
	v_mul_f32_e32 v27, 0xbf0a6770, v5
	v_mul_f32_e32 v30, 0xbf0a6770, v2
	;; [unrolled: 1-line block ×3, first 2 shown]
	v_add_f32_e32 v25, v25, v29
	v_add_f32_e32 v28, v28, v33
	v_fma_f32 v29, v20, s0, -v27
	v_fmac_f32_e32 v27, 0x3f575c64, v20
	v_mul_f32_e32 v5, 0xbf4178ce, v5
	v_mov_b32_e32 v33, v2
	v_fma_f32 v2, v22, s3, -v2
	v_add_f32_e32 v27, v27, v31
	v_fma_f32 v31, v20, s3, -v5
	v_fmac_f32_e32 v5, 0xbf27a4f4, v20
	v_add_f32_e32 v2, v2, v14
	v_add_f32_e32 v14, v7, v13
	v_sub_f32_e32 v7, v7, v13
	v_add_f32_e32 v3, v5, v3
	v_add_f32_e32 v5, v4, v10
	v_sub_f32_e32 v4, v4, v10
	v_mul_f32_e32 v10, 0xbf4178ce, v7
	v_fma_f32 v13, v5, s3, -v10
	v_add_f32_e32 v13, v13, v15
	v_mul_f32_e32 v15, 0xbf4178ce, v4
	v_fmac_f32_e32 v10, 0xbf27a4f4, v5
	v_mov_b32_e32 v20, v15
	v_add_f32_e32 v10, v10, v12
	v_fma_f32 v12, v14, s3, -v15
	v_mul_f32_e32 v15, 0x3f7d64f0, v7
	v_add_f32_e32 v12, v12, v16
	v_fma_f32 v16, v5, s2, -v15
	v_add_f32_e32 v16, v16, v21
	v_mul_f32_e32 v21, 0x3f7d64f0, v4
	v_fmac_f32_e32 v15, 0xbe11bafb, v5
	v_add_f32_e32 v15, v15, v17
	v_fma_f32 v17, v14, s2, -v21
	v_add_f32_e32 v29, v29, v32
	v_mov_b32_e32 v32, v30
	v_fmac_f32_e32 v20, 0xbf27a4f4, v14
	v_add_f32_e32 v17, v17, v18
	v_mul_f32_e32 v18, 0xbf0a6770, v7
	v_fmac_f32_e32 v32, 0x3f575c64, v22
	v_fma_f32 v30, v22, s0, -v30
	v_fmac_f32_e32 v33, 0xbf27a4f4, v22
	v_add_f32_e32 v20, v20, v23
	v_mov_b32_e32 v22, v21
	v_fma_f32 v21, v5, s0, -v18
	v_mul_f32_e32 v23, 0xbf0a6770, v4
	v_fmac_f32_e32 v18, 0x3f575c64, v5
	v_fmac_f32_e32 v22, 0xbe11bafb, v14
	v_add_f32_e32 v21, v21, v24
	v_mov_b32_e32 v24, v23
	v_add_f32_e32 v18, v18, v19
	v_fma_f32 v19, v14, s0, -v23
	v_mul_f32_e32 v23, 0xbe903f40, v7
	v_add_f32_e32 v22, v22, v25
	v_add_f32_e32 v19, v19, v26
	v_fma_f32 v25, v5, s6, -v23
	v_mul_f32_e32 v26, 0xbe903f40, v4
	v_mul_f32_e32 v4, 0x3f68dda4, v4
	v_add_f32_e32 v34, v34, v43
	v_add_f32_e32 v42, v42, v46
	v_fmac_f32_e32 v24, 0x3f575c64, v14
	v_add_f32_e32 v25, v25, v29
	v_fmac_f32_e32 v23, 0xbf75a155, v5
	v_mul_f32_e32 v7, 0x3f68dda4, v7
	v_mov_b32_e32 v29, v4
	v_add_f32_e32 v41, v41, v44
	v_add_f32_e32 v35, v35, v45
	;; [unrolled: 1-line block ×5, first 2 shown]
	v_mov_b32_e32 v28, v26
	v_add_f32_e32 v23, v23, v27
	v_fma_f32 v26, v14, s6, -v26
	v_fma_f32 v27, v5, s1, -v7
	v_fmac_f32_e32 v29, 0x3ed4b147, v14
	v_fmac_f32_e32 v7, 0x3ed4b147, v5
	v_sub_f32_e32 v34, v6, v8
	v_add_f32_e32 v32, v32, v41
	v_add_f32_e32 v31, v31, v35
	v_fmac_f32_e32 v28, 0xbf75a155, v14
	v_add_f32_e32 v26, v26, v30
	v_add_f32_e32 v29, v29, v33
	;; [unrolled: 1-line block ×3, first 2 shown]
	v_fma_f32 v3, v14, s1, -v4
	v_add_f32_e32 v33, v9, v11
	v_sub_f32_e32 v35, v9, v11
	v_mul_f32_e32 v5, 0xbe903f40, v34
	v_add_f32_e32 v28, v28, v32
	v_add_f32_e32 v27, v27, v31
	;; [unrolled: 1-line block ×4, first 2 shown]
	v_mul_f32_e32 v4, 0xbe903f40, v35
	v_mov_b32_e32 v3, v5
	v_fma_f32 v5, v33, s6, -v5
	v_fma_f32 v2, v32, s6, -v4
	v_fmac_f32_e32 v4, 0xbf75a155, v32
	v_add_f32_e32 v5, v5, v12
	v_mul_f32_e32 v9, 0x3f0a6770, v34
	v_mul_f32_e32 v12, 0xbf4178ce, v35
	v_add_f32_e32 v2, v2, v13
	v_add_f32_e32 v4, v4, v10
	v_mul_f32_e32 v8, 0x3f0a6770, v35
	v_mov_b32_e32 v7, v9
	v_fma_f32 v9, v33, s0, -v9
	v_fma_f32 v10, v32, s3, -v12
	v_mul_f32_e32 v13, 0xbf4178ce, v34
	v_fmac_f32_e32 v3, 0xbf75a155, v33
	v_fma_f32 v6, v32, s0, -v8
	v_fmac_f32_e32 v8, 0x3f575c64, v32
	v_add_f32_e32 v9, v9, v17
	v_add_f32_e32 v10, v10, v21
	v_mov_b32_e32 v11, v13
	v_fma_f32 v13, v33, s3, -v13
	v_mul_f32_e32 v17, 0x3f68dda4, v34
	v_mul_f32_e32 v21, 0xbf7d64f0, v34
	v_add_f32_e32 v3, v3, v20
	v_add_f32_e32 v6, v6, v16
	;; [unrolled: 1-line block ×3, first 2 shown]
	v_fmac_f32_e32 v12, 0xbf27a4f4, v32
	v_add_f32_e32 v13, v13, v19
	v_mul_f32_e32 v16, 0x3f68dda4, v35
	v_mov_b32_e32 v15, v17
	v_mul_f32_e32 v20, 0xbf7d64f0, v35
	v_mov_b32_e32 v19, v21
	v_fmac_f32_e32 v7, 0x3f575c64, v33
	v_fmac_f32_e32 v11, 0xbf27a4f4, v33
	v_add_f32_e32 v12, v12, v18
	v_fma_f32 v14, v32, s1, -v16
	v_fmac_f32_e32 v15, 0x3ed4b147, v33
	v_fmac_f32_e32 v16, 0x3ed4b147, v32
	v_fma_f32 v17, v33, s1, -v17
	v_fma_f32 v18, v32, s2, -v20
	v_fmac_f32_e32 v19, 0xbe11bafb, v33
	v_fmac_f32_e32 v20, 0xbe11bafb, v32
	v_fma_f32 v21, v33, s2, -v21
	v_add_f32_e32 v7, v7, v22
	v_add_f32_e32 v11, v11, v24
	;; [unrolled: 1-line block ×10, first 2 shown]
	ds_write2_b64 v52, v[0:1], v[2:3] offset1:34
	ds_write2_b64 v52, v[6:7], v[10:11] offset0:68 offset1:102
	ds_write2_b64 v52, v[14:15], v[18:19] offset0:136 offset1:170
	;; [unrolled: 1-line block ×4, first 2 shown]
	ds_write_b64 v52, v[4:5] offset:2720
	s_waitcnt lgkmcnt(0)
	s_barrier
	s_and_saveexec_b64 s[0:1], vcc
	s_cbranch_execz .LBB0_28
; %bb.27:
	v_mul_lo_u32 v0, s5, v38
	v_mul_lo_u32 v1, s4, v39
	v_mad_u64_u32 v[4:5], s[0:1], s4, v38, 0
	v_mov_b32_e32 v7, s11
	v_lshl_add_u32 v6, v40, 3, v51
	v_add3_u32 v5, v5, v1, v0
	v_lshlrev_b64 v[4:5], 3, v[4:5]
	v_mov_b32_e32 v41, 0
	v_add_co_u32_e32 v8, vcc, s10, v4
	v_addc_co_u32_e32 v7, vcc, v7, v5, vcc
	v_lshlrev_b64 v[4:5], 3, v[36:37]
	ds_read2_b64 v[0:3], v6 offset1:34
	v_add_co_u32_e32 v8, vcc, v8, v4
	v_addc_co_u32_e32 v7, vcc, v7, v5, vcc
	v_lshlrev_b64 v[4:5], 3, v[40:41]
	v_add_co_u32_e32 v4, vcc, v8, v4
	v_addc_co_u32_e32 v5, vcc, v7, v5, vcc
	s_waitcnt lgkmcnt(0)
	global_store_dwordx2 v[4:5], v[0:1], off
	v_add_u32_e32 v0, 34, v40
	v_mov_b32_e32 v1, v41
	v_lshlrev_b64 v[0:1], 3, v[0:1]
	v_add_u32_e32 v4, 0x44, v40
	v_add_co_u32_e32 v0, vcc, v8, v0
	v_addc_co_u32_e32 v1, vcc, v7, v1, vcc
	global_store_dwordx2 v[0:1], v[2:3], off
	v_mov_b32_e32 v5, v41
	ds_read2_b64 v[0:3], v6 offset0:68 offset1:102
	v_lshlrev_b64 v[4:5], 3, v[4:5]
	v_add_co_u32_e32 v4, vcc, v8, v4
	v_addc_co_u32_e32 v5, vcc, v7, v5, vcc
	s_waitcnt lgkmcnt(0)
	global_store_dwordx2 v[4:5], v[0:1], off
	v_add_u32_e32 v0, 0x66, v40
	v_mov_b32_e32 v1, v41
	v_lshlrev_b64 v[0:1], 3, v[0:1]
	v_add_u32_e32 v4, 0x88, v40
	v_add_co_u32_e32 v0, vcc, v8, v0
	v_addc_co_u32_e32 v1, vcc, v7, v1, vcc
	global_store_dwordx2 v[0:1], v[2:3], off
	v_mov_b32_e32 v5, v41
	ds_read2_b64 v[0:3], v6 offset0:136 offset1:170
	;; [unrolled: 14-line block ×3, first 2 shown]
	v_lshlrev_b64 v[4:5], 3, v[4:5]
	v_add_co_u32_e32 v4, vcc, v8, v4
	v_addc_co_u32_e32 v5, vcc, v7, v5, vcc
	s_waitcnt lgkmcnt(0)
	global_store_dwordx2 v[4:5], v[0:1], off
	v_add_u32_e32 v0, 0xee, v40
	v_mov_b32_e32 v1, v41
	v_lshlrev_b64 v[0:1], 3, v[0:1]
	v_add_u32_e32 v4, 0x110, v40
	v_add_co_u32_e32 v0, vcc, v8, v0
	v_addc_co_u32_e32 v1, vcc, v7, v1, vcc
	global_store_dwordx2 v[0:1], v[2:3], off
	v_add_u32_e32 v0, 0x800, v6
	v_mov_b32_e32 v5, v41
	ds_read2_b64 v[0:3], v0 offset0:16 offset1:50
	v_lshlrev_b64 v[4:5], 3, v[4:5]
	v_add_co_u32_e32 v4, vcc, v8, v4
	v_addc_co_u32_e32 v5, vcc, v7, v5, vcc
	s_waitcnt lgkmcnt(0)
	global_store_dwordx2 v[4:5], v[0:1], off
	v_add_u32_e32 v0, 0x132, v40
	v_mov_b32_e32 v1, v41
	v_lshlrev_b64 v[0:1], 3, v[0:1]
	v_add_u32_e32 v40, 0x154, v40
	v_add_co_u32_e32 v0, vcc, v8, v0
	v_addc_co_u32_e32 v1, vcc, v7, v1, vcc
	global_store_dwordx2 v[0:1], v[2:3], off
	ds_read_b64 v[0:1], v6 offset:2720
	v_lshlrev_b64 v[2:3], 3, v[40:41]
	v_add_co_u32_e32 v2, vcc, v8, v2
	v_addc_co_u32_e32 v3, vcc, v7, v3, vcc
	s_waitcnt lgkmcnt(0)
	global_store_dwordx2 v[2:3], v[0:1], off
.LBB0_28:
	s_endpgm
	.section	.rodata,"a",@progbits
	.p2align	6, 0x0
	.amdhsa_kernel fft_rtc_fwd_len374_factors_17_2_11_wgs_238_tpt_34_halfLds_sp_op_CI_CI_unitstride_sbrr_C2R_dirReg
		.amdhsa_group_segment_fixed_size 0
		.amdhsa_private_segment_fixed_size 0
		.amdhsa_kernarg_size 104
		.amdhsa_user_sgpr_count 6
		.amdhsa_user_sgpr_private_segment_buffer 1
		.amdhsa_user_sgpr_dispatch_ptr 0
		.amdhsa_user_sgpr_queue_ptr 0
		.amdhsa_user_sgpr_kernarg_segment_ptr 1
		.amdhsa_user_sgpr_dispatch_id 0
		.amdhsa_user_sgpr_flat_scratch_init 0
		.amdhsa_user_sgpr_private_segment_size 0
		.amdhsa_uses_dynamic_stack 0
		.amdhsa_system_sgpr_private_segment_wavefront_offset 0
		.amdhsa_system_sgpr_workgroup_id_x 1
		.amdhsa_system_sgpr_workgroup_id_y 0
		.amdhsa_system_sgpr_workgroup_id_z 0
		.amdhsa_system_sgpr_workgroup_info 0
		.amdhsa_system_vgpr_workitem_id 0
		.amdhsa_next_free_vgpr 151
		.amdhsa_next_free_sgpr 28
		.amdhsa_reserve_vcc 1
		.amdhsa_reserve_flat_scratch 0
		.amdhsa_float_round_mode_32 0
		.amdhsa_float_round_mode_16_64 0
		.amdhsa_float_denorm_mode_32 3
		.amdhsa_float_denorm_mode_16_64 3
		.amdhsa_dx10_clamp 1
		.amdhsa_ieee_mode 1
		.amdhsa_fp16_overflow 0
		.amdhsa_exception_fp_ieee_invalid_op 0
		.amdhsa_exception_fp_denorm_src 0
		.amdhsa_exception_fp_ieee_div_zero 0
		.amdhsa_exception_fp_ieee_overflow 0
		.amdhsa_exception_fp_ieee_underflow 0
		.amdhsa_exception_fp_ieee_inexact 0
		.amdhsa_exception_int_div_zero 0
	.end_amdhsa_kernel
	.text
.Lfunc_end0:
	.size	fft_rtc_fwd_len374_factors_17_2_11_wgs_238_tpt_34_halfLds_sp_op_CI_CI_unitstride_sbrr_C2R_dirReg, .Lfunc_end0-fft_rtc_fwd_len374_factors_17_2_11_wgs_238_tpt_34_halfLds_sp_op_CI_CI_unitstride_sbrr_C2R_dirReg
                                        ; -- End function
	.section	.AMDGPU.csdata,"",@progbits
; Kernel info:
; codeLenInByte = 11232
; NumSgprs: 32
; NumVgprs: 151
; ScratchSize: 0
; MemoryBound: 0
; FloatMode: 240
; IeeeMode: 1
; LDSByteSize: 0 bytes/workgroup (compile time only)
; SGPRBlocks: 3
; VGPRBlocks: 37
; NumSGPRsForWavesPerEU: 32
; NumVGPRsForWavesPerEU: 151
; Occupancy: 1
; WaveLimiterHint : 1
; COMPUTE_PGM_RSRC2:SCRATCH_EN: 0
; COMPUTE_PGM_RSRC2:USER_SGPR: 6
; COMPUTE_PGM_RSRC2:TRAP_HANDLER: 0
; COMPUTE_PGM_RSRC2:TGID_X_EN: 1
; COMPUTE_PGM_RSRC2:TGID_Y_EN: 0
; COMPUTE_PGM_RSRC2:TGID_Z_EN: 0
; COMPUTE_PGM_RSRC2:TIDIG_COMP_CNT: 0
	.type	__hip_cuid_21fc1ad1887b0b74,@object ; @__hip_cuid_21fc1ad1887b0b74
	.section	.bss,"aw",@nobits
	.globl	__hip_cuid_21fc1ad1887b0b74
__hip_cuid_21fc1ad1887b0b74:
	.byte	0                               ; 0x0
	.size	__hip_cuid_21fc1ad1887b0b74, 1

	.ident	"AMD clang version 19.0.0git (https://github.com/RadeonOpenCompute/llvm-project roc-6.4.0 25133 c7fe45cf4b819c5991fe208aaa96edf142730f1d)"
	.section	".note.GNU-stack","",@progbits
	.addrsig
	.addrsig_sym __hip_cuid_21fc1ad1887b0b74
	.amdgpu_metadata
---
amdhsa.kernels:
  - .args:
      - .actual_access:  read_only
        .address_space:  global
        .offset:         0
        .size:           8
        .value_kind:     global_buffer
      - .offset:         8
        .size:           8
        .value_kind:     by_value
      - .actual_access:  read_only
        .address_space:  global
        .offset:         16
        .size:           8
        .value_kind:     global_buffer
      - .actual_access:  read_only
        .address_space:  global
        .offset:         24
        .size:           8
        .value_kind:     global_buffer
      - .actual_access:  read_only
        .address_space:  global
        .offset:         32
        .size:           8
        .value_kind:     global_buffer
      - .offset:         40
        .size:           8
        .value_kind:     by_value
      - .actual_access:  read_only
        .address_space:  global
        .offset:         48
        .size:           8
        .value_kind:     global_buffer
      - .actual_access:  read_only
        .address_space:  global
        .offset:         56
        .size:           8
        .value_kind:     global_buffer
      - .offset:         64
        .size:           4
        .value_kind:     by_value
      - .actual_access:  read_only
        .address_space:  global
        .offset:         72
        .size:           8
        .value_kind:     global_buffer
      - .actual_access:  read_only
        .address_space:  global
        .offset:         80
        .size:           8
        .value_kind:     global_buffer
      - .actual_access:  read_only
        .address_space:  global
        .offset:         88
        .size:           8
        .value_kind:     global_buffer
      - .actual_access:  write_only
        .address_space:  global
        .offset:         96
        .size:           8
        .value_kind:     global_buffer
    .group_segment_fixed_size: 0
    .kernarg_segment_align: 8
    .kernarg_segment_size: 104
    .language:       OpenCL C
    .language_version:
      - 2
      - 0
    .max_flat_workgroup_size: 238
    .name:           fft_rtc_fwd_len374_factors_17_2_11_wgs_238_tpt_34_halfLds_sp_op_CI_CI_unitstride_sbrr_C2R_dirReg
    .private_segment_fixed_size: 0
    .sgpr_count:     32
    .sgpr_spill_count: 0
    .symbol:         fft_rtc_fwd_len374_factors_17_2_11_wgs_238_tpt_34_halfLds_sp_op_CI_CI_unitstride_sbrr_C2R_dirReg.kd
    .uniform_work_group_size: 1
    .uses_dynamic_stack: false
    .vgpr_count:     151
    .vgpr_spill_count: 0
    .wavefront_size: 64
amdhsa.target:   amdgcn-amd-amdhsa--gfx906
amdhsa.version:
  - 1
  - 2
...

	.end_amdgpu_metadata
